;; amdgpu-corpus repo=vllm-project/vllm kind=triton arch=gfx950 opt=O3 lang=triton
	.amdgcn_target "amdgcn-amd-amdhsa--gfx950"
	.amdhsa_code_object_version 5
	.text
	.globl	_per_token_group_quant_int8     ; -- Begin function _per_token_group_quant_int8
	.p2align	8
	.type	_per_token_group_quant_int8,@function
_per_token_group_quant_int8:            ; @_per_token_group_quant_int8
.Lfunc_begin0:
	.cfi_sections .debug_frame
	.cfi_startproc
; %bb.9:
	.file	1 "/root/src/amdgpu-assembly/repos/vllm-project__vllm/triton_aot_kernels" "int8_utils_aot.py"
	.loc	1 33 0 prologue_end             ; int8_utils_aot.py:33:0
	s_load_dwordx2 s[2:3], s[0:1], 0x0
	s_load_dwordx8 s[4:11], s[0:1], 0x8
	s_load_dwordx4 s[12:15], s[0:1], 0x28
	s_waitcnt lgkmcnt(0)
	s_branch .LBB0_0
	.loc	1 0 0 is_stmt 0                 ; :0:0
.Ltmp0:
	.p2align	8
; %bb.10:
.LBB0_0:
.Ltmp1:
	.loc	1 57 20 is_stmt 1               ; int8_utils_aot.py:57:20
	s_mul_i32 s14, s8, s16
	.loc	1 57 13 is_stmt 0               ; int8_utils_aot.py:57:13
	s_ashr_i32 s15, s14, 31
	s_lshl_b64 s[0:1], s[14:15], 1
	.loc	1 71 22 is_stmt 1               ; int8_utils_aot.py:71:22
	v_readfirstlane_b32 s13, v0
	.loc	1 57 13                         ; int8_utils_aot.py:57:13
	s_add_u32 s20, s2, s0
	.loc	1 61 24                         ; int8_utils_aot.py:61:24
	v_and_b32_e32 v1, 63, v0
	.loc	1 57 13                         ; int8_utils_aot.py:57:13
	s_addc_u32 s0, s3, s1
	.loc	1 61 24                         ; int8_utils_aot.py:61:24
	v_and_or_b32 v2, s13, 64, v1
	.loc	1 64 16                         ; int8_utils_aot.py:64:16
	s_and_b32 s21, s0, 0xffff
	v_lshlrev_b32_e32 v3, 1, v2
	v_bfrev_b32_e32 v4, 1
	.loc	1 62 18                         ; int8_utils_aot.py:62:18
	v_cmp_gt_i32_e64 s[0:1], s9, v2
	s_mov_b32 s23, 0x27000
	s_mov_b32 s22, 0x7ffffffe
	.loc	1 64 16                         ; int8_utils_aot.py:64:16
	v_cndmask_b32_e64 v3, v4, v3, s[0:1]
	buffer_load_ushort v3, v3, s[20:23], 0 offen
.Ltmp2:
	.file	2 "/root/.local/lib/python3.13/site-packages/triton/language" "standard.py"
	.loc	2 191 40                        ; standard.py:191:40 @[ int8_utils_aot.py:66:32 ]
	s_and_b32 s8, s13, 0x80
	v_or_b32_e32 v4, s8, v1
	v_cmp_eq_u32_e32 vcc, 0, v4
.Ltmp3:
	.loc	1 64 55                         ; int8_utils_aot.py:64:55
	s_waitcnt vmcnt(0)
	v_cvt_f32_f16_e32 v3, v3
	.loc	1 66 39                         ; int8_utils_aot.py:66:39
	v_and_b32_e32 v5, 0x7fffffff, v3
.Ltmp4:
	.loc	2 191 40                        ; standard.py:191:40 @[ int8_utils_aot.py:66:32 ]
	s_nop 1
	v_mov_b32_dpp v5, v5 row_shr:8 row_mask:0xf bank_mask:0xf bound_ctrl:1
.Ltmp5:
	.loc	2 170 27                        ; standard.py:170:27 @[ standard.py:191:40 @[ int8_utils_aot.py:66:32 ] ]
	v_max_f32_e32 v5, v5, v5
	v_max_f32_e64 v5, |v3|, v5
.Ltmp6:
	.loc	2 191 40                        ; standard.py:191:40 @[ int8_utils_aot.py:66:32 ]
	s_nop 1
	v_mov_b32_dpp v6, v5 row_shr:4 row_mask:0xf bank_mask:0xf bound_ctrl:1
.Ltmp7:
	.loc	2 170 27                        ; standard.py:170:27 @[ standard.py:191:40 @[ int8_utils_aot.py:66:32 ] ]
	v_max_f32_e32 v6, v6, v6
	v_max_f32_e32 v5, v5, v6
.Ltmp8:
	.loc	2 191 40                        ; standard.py:191:40 @[ int8_utils_aot.py:66:32 ]
	s_nop 1
	v_mov_b32_dpp v6, v5 row_shr:2 row_mask:0xf bank_mask:0xf bound_ctrl:1
.Ltmp9:
	.loc	2 170 27                        ; standard.py:170:27 @[ standard.py:191:40 @[ int8_utils_aot.py:66:32 ] ]
	v_max_f32_e32 v6, v6, v6
	v_max_f32_e32 v5, v5, v6
.Ltmp10:
	.loc	2 191 40                        ; standard.py:191:40 @[ int8_utils_aot.py:66:32 ]
	s_nop 1
	v_mov_b32_dpp v6, v5 row_shr:1 row_mask:0xf bank_mask:0xf bound_ctrl:1
.Ltmp11:
	.loc	2 170 27                        ; standard.py:170:27 @[ standard.py:191:40 @[ int8_utils_aot.py:66:32 ] ]
	v_max_f32_e32 v6, v6, v6
	v_max_f32_e32 v5, v5, v6
.Ltmp12:
	.loc	2 191 40                        ; standard.py:191:40 @[ int8_utils_aot.py:66:32 ]
	v_mov_b32_e32 v6, v5
	s_nop 1
	v_mov_b32_dpp v6, v6 row_bcast:15 row_mask:0xa bank_mask:0xf bound_ctrl:1
.Ltmp13:
	.loc	2 170 27                        ; standard.py:170:27 @[ standard.py:191:40 @[ int8_utils_aot.py:66:32 ] ]
	v_max_f32_e32 v6, v6, v6
	v_max_f32_e32 v5, v5, v6
.Ltmp14:
	.loc	2 191 40                        ; standard.py:191:40 @[ int8_utils_aot.py:66:32 ]
	s_nop 1
	v_mov_b32_dpp v6, v5 row_bcast:31 row_mask:0xf bank_mask:0xf bound_ctrl:1
.Ltmp15:
	.loc	2 170 27                        ; standard.py:170:27 @[ standard.py:191:40 @[ int8_utils_aot.py:66:32 ] ]
	v_max_f32_e32 v6, v6, v6
	v_max_f32_e32 v5, v5, v6
.Ltmp16:
	.loc	2 191 40                        ; standard.py:191:40 @[ int8_utils_aot.py:66:32 ]
	s_nop 0
	v_readlane_b32 s9, v5, 63
	s_and_saveexec_b64 s[2:3], vcc
	s_cbranch_execz .LBB0_2
; %bb.1:
	.loc	2 0 40 is_stmt 0                ; standard.py:0:40
	s_lshr_b32 s17, s13, 4
	s_and_b32 s17, s17, 4
	s_add_i32 s17, s17, 0
	.loc	2 191 40                        ; standard.py:191:40 @[ int8_utils_aot.py:66:32 ]
	v_mov_b32_e32 v4, s17
	v_mov_b32_e32 v5, s9
	ds_write_b32 v4, v5
.LBB0_2:
	.loc	2 0 40                          ; standard.py:0:40
	s_or_b64 exec, exec, s[2:3]
	.loc	2 191 40                        ; standard.py:191:40 @[ int8_utils_aot.py:66:32 ]
	v_cmp_gt_u32_e32 vcc, 2, v0
	v_lshl_add_u32 v4, v0, 2, 0
.Ltmp17:
	.loc	1 66 32 is_stmt 1               ; int8_utils_aot.py:66:32
	v_mov_b32_e32 v5, 0
.Ltmp18:
	.loc	2 191 40                        ; standard.py:191:40 @[ int8_utils_aot.py:66:32 ]
	s_waitcnt lgkmcnt(0)
	s_barrier
	s_and_saveexec_b64 s[2:3], vcc
; %bb.3:
	ds_read_b32 v5, v4
; %bb.4:
	.loc	2 0 40 is_stmt 0                ; standard.py:0:40
	s_or_b64 exec, exec, s[2:3]
	.loc	2 191 40                        ; standard.py:191:40 @[ int8_utils_aot.py:66:32 ]
	v_and_b32_e32 v0, 1, v0
	s_waitcnt lgkmcnt(0)
	v_mov_b32_e32 v6, v5
	v_cmp_eq_u32_e64 s[2:3], 0, v0
	s_and_b64 s[18:19], vcc, s[2:3]
	v_mov_b32_dpp v6, v6 quad_perm:[1,0,3,2] row_mask:0xf bank_mask:0xf
	s_and_saveexec_b64 s[2:3], s[18:19]
; %bb.5:
	.loc	2 0 40                          ; standard.py:0:40
	v_max_f32_e32 v0, v6, v6
	v_max_f32_e32 v5, v5, v5
	v_max_f32_e32 v0, v5, v0
	.loc	2 191 40                        ; standard.py:191:40 @[ int8_utils_aot.py:66:32 ]
	ds_write_b32 v4, v0
; %bb.6:
	.loc	2 0 40                          ; standard.py:0:40
	s_or_b64 exec, exec, s[2:3]
	.loc	2 191 40                        ; standard.py:191:40 @[ int8_utils_aot.py:66:32 ]
	v_mov_b32_e32 v0, 0
	s_waitcnt lgkmcnt(0)
	s_barrier
	ds_read_b32 v4, v0
.Ltmp19:
	.loc	1 66 44 is_stmt 1               ; int8_utils_aot.py:66:44
	v_max_f32_e64 v5, s10, s10
	.loc	1 71 22                         ; int8_utils_aot.py:71:22
	s_lshr_b32 s9, s13, 6
	.loc	1 58 15                         ; int8_utils_aot.py:58:15
	s_add_u32 s20, s4, s14
	s_addc_u32 s4, s5, s15
	.loc	1 66 44                         ; int8_utils_aot.py:66:44
	s_waitcnt lgkmcnt(0)
	v_max_f32_e32 v4, v4, v4
	v_max_f32_e32 v4, v4, v5
	.loc	1 67 20                         ; int8_utils_aot.py:67:20
	v_div_scale_f32 v5, s[2:3], s12, s12, v4
	v_rcp_f32_e32 v6, v5
.Ltmp20:
	.loc	2 191 40                        ; standard.py:191:40 @[ int8_utils_aot.py:66:32 ]
	s_cmp_eq_u32 s8, 0
.Ltmp21:
	.loc	1 71 22                         ; int8_utils_aot.py:71:22
	v_or_b32_e32 v1, s9, v1
	.loc	1 67 20                         ; int8_utils_aot.py:67:20
	v_fma_f32 v7, -v5, v6, 1.0
	v_fmac_f32_e32 v6, v7, v6
	v_div_scale_f32 v7, vcc, v4, s12, v4
	v_mul_f32_e32 v8, v7, v6
	v_fma_f32 v9, -v5, v8, v7
	v_fmac_f32_e32 v8, v9, v6
	v_fma_f32 v5, -v5, v8, v7
	v_div_fmas_f32 v5, v5, v6, v8
	v_div_fixup_f32 v4, v5, s12, v4
	.loc	1 68 23                         ; int8_utils_aot.py:68:23
	v_div_scale_f32 v5, s[2:3], v4, v4, v3
	v_rcp_f32_e32 v6, v5
.Ltmp22:
	.loc	2 191 40                        ; standard.py:191:40 @[ int8_utils_aot.py:66:32 ]
	s_cselect_b64 s[2:3], -1, 0
.Ltmp23:
	.loc	1 70 29                         ; int8_utils_aot.py:70:29
	s_and_b32 s21, s4, 0xffff
	.loc	1 68 23                         ; int8_utils_aot.py:68:23
	v_fma_f32 v7, -v5, v6, 1.0
	v_fmac_f32_e32 v6, v7, v6
	v_div_scale_f32 v7, vcc, v3, v4, v3
	v_mul_f32_e32 v8, v7, v6
	v_fma_f32 v9, -v5, v8, v7
	v_fmac_f32_e32 v8, v9, v6
	v_fma_f32 v5, -v5, v8, v7
	v_div_fmas_f32 v5, v5, v6, v8
	v_div_fixup_f32 v3, v5, v4, v3
	.loc	1 68 38 is_stmt 0               ; int8_utils_aot.py:68:38
	v_mov_b32_e32 v5, s12
	v_med3_f32 v3, v3, s11, v5
	.loc	1 68 51                         ; int8_utils_aot.py:68:51
	v_cvt_i32_f32_e32 v3, v3
	.loc	1 70 29 is_stmt 1               ; int8_utils_aot.py:70:29
	v_bfrev_b32_e32 v5, 1
	s_and_b64 vcc, s[2:3], s[0:1]
	v_cndmask_b32_e32 v2, v5, v2, vcc
	.loc	1 71 22                         ; int8_utils_aot.py:71:22
	v_cmp_eq_u32_e32 vcc, 0, v1
	.loc	1 70 29                         ; int8_utils_aot.py:70:29
	buffer_store_byte v3, v2, s[20:23], 0 offen
	.loc	1 71 22                         ; int8_utils_aot.py:71:22
	s_and_saveexec_b64 s[0:1], vcc
	s_cbranch_execz .LBB0_8
; %bb.7:
	.loc	1 59 15                         ; int8_utils_aot.py:59:15
	s_ashr_i32 s17, s16, 31
	s_lshl_b64 s[0:1], s[16:17], 2
	s_add_u32 s0, s6, s0
	s_addc_u32 s1, s7, s1
	.loc	1 71 22                         ; int8_utils_aot.py:71:22
	global_store_dword v0, v4, s[0:1]
.LBB0_8:
	.loc	1 71 4 is_stmt 0                ; int8_utils_aot.py:71:4
	s_endpgm
.Ltmp24:
	.section	.rodata,"a",@progbits
	.p2align	6, 0x0
	.amdhsa_kernel _per_token_group_quant_int8
		.amdhsa_group_segment_fixed_size 0
		.amdhsa_private_segment_fixed_size 0
		.amdhsa_kernarg_size 64
		.amdhsa_user_sgpr_count 16
		.amdhsa_user_sgpr_dispatch_ptr 0
		.amdhsa_user_sgpr_queue_ptr 0
		.amdhsa_user_sgpr_kernarg_segment_ptr 1
		.amdhsa_user_sgpr_dispatch_id 0
		.amdhsa_user_sgpr_kernarg_preload_length 14
		.amdhsa_user_sgpr_kernarg_preload_offset 0
		.amdhsa_user_sgpr_private_segment_size 0
		.amdhsa_uses_dynamic_stack 0
		.amdhsa_enable_private_segment 0
		.amdhsa_system_sgpr_workgroup_id_x 1
		.amdhsa_system_sgpr_workgroup_id_y 0
		.amdhsa_system_sgpr_workgroup_id_z 0
		.amdhsa_system_sgpr_workgroup_info 0
		.amdhsa_system_vgpr_workitem_id 0
		.amdhsa_next_free_vgpr 10
		.amdhsa_next_free_sgpr 24
		.amdhsa_accum_offset 12
		.amdhsa_reserve_vcc 1
		.amdhsa_reserve_xnack_mask 1
		.amdhsa_float_round_mode_32 0
		.amdhsa_float_round_mode_16_64 0
		.amdhsa_float_denorm_mode_32 3
		.amdhsa_float_denorm_mode_16_64 3
		.amdhsa_dx10_clamp 1
		.amdhsa_ieee_mode 1
		.amdhsa_fp16_overflow 0
		.amdhsa_tg_split 0
		.amdhsa_exception_fp_ieee_invalid_op 0
		.amdhsa_exception_fp_denorm_src 0
		.amdhsa_exception_fp_ieee_div_zero 0
		.amdhsa_exception_fp_ieee_overflow 0
		.amdhsa_exception_fp_ieee_underflow 0
		.amdhsa_exception_fp_ieee_inexact 0
		.amdhsa_exception_int_div_zero 0
	.end_amdhsa_kernel
	.text
.Lfunc_end0:
	.size	_per_token_group_quant_int8, .Lfunc_end0-_per_token_group_quant_int8
	.cfi_endproc
                                        ; -- End function
	.set _per_token_group_quant_int8.num_vgpr, 10
	.set _per_token_group_quant_int8.num_agpr, 0
	.set _per_token_group_quant_int8.numbered_sgpr, 24
	.set _per_token_group_quant_int8.num_named_barrier, 0
	.set _per_token_group_quant_int8.private_seg_size, 0
	.set _per_token_group_quant_int8.uses_vcc, 1
	.set _per_token_group_quant_int8.uses_flat_scratch, 0
	.set _per_token_group_quant_int8.has_dyn_sized_stack, 0
	.set _per_token_group_quant_int8.has_recursion, 0
	.set _per_token_group_quant_int8.has_indirect_call, 0
	.section	.AMDGPU.csdata,"",@progbits
; Kernel info:
; codeLenInByte = 952
; TotalNumSgprs: 30
; NumVgprs: 10
; NumAgprs: 0
; TotalNumVgprs: 10
; ScratchSize: 0
; MemoryBound: 0
; FloatMode: 240
; IeeeMode: 1
; LDSByteSize: 0 bytes/workgroup (compile time only)
; SGPRBlocks: 3
; VGPRBlocks: 1
; NumSGPRsForWavesPerEU: 30
; NumVGPRsForWavesPerEU: 10
; AccumOffset: 12
; Occupancy: 8
; WaveLimiterHint : 0
; COMPUTE_PGM_RSRC2:SCRATCH_EN: 0
; COMPUTE_PGM_RSRC2:USER_SGPR: 16
; COMPUTE_PGM_RSRC2:TRAP_HANDLER: 0
; COMPUTE_PGM_RSRC2:TGID_X_EN: 1
; COMPUTE_PGM_RSRC2:TGID_Y_EN: 0
; COMPUTE_PGM_RSRC2:TGID_Z_EN: 0
; COMPUTE_PGM_RSRC2:TIDIG_COMP_CNT: 0
; COMPUTE_PGM_RSRC3_GFX90A:ACCUM_OFFSET: 2
; COMPUTE_PGM_RSRC3_GFX90A:TG_SPLIT: 0
	.text
	.p2alignl 6, 3212836864
	.fill 256, 4, 3212836864
	.section	.AMDGPU.gpr_maximums,"",@progbits
	.set amdgpu.max_num_vgpr, 0
	.set amdgpu.max_num_agpr, 0
	.set amdgpu.max_num_sgpr, 0
	.set amdgpu.max_num_named_barrier, 0
	.text
	.section	.debug_abbrev,"",@progbits
	.byte	1                               ; Abbreviation Code
	.byte	17                              ; DW_TAG_compile_unit
	.byte	1                               ; DW_CHILDREN_yes
	.byte	37                              ; DW_AT_producer
	.byte	14                              ; DW_FORM_strp
	.byte	19                              ; DW_AT_language
	.byte	5                               ; DW_FORM_data2
	.byte	3                               ; DW_AT_name
	.byte	14                              ; DW_FORM_strp
	.byte	16                              ; DW_AT_stmt_list
	.byte	23                              ; DW_FORM_sec_offset
	.byte	27                              ; DW_AT_comp_dir
	.byte	14                              ; DW_FORM_strp
	.byte	17                              ; DW_AT_low_pc
	.byte	1                               ; DW_FORM_addr
	.byte	18                              ; DW_AT_high_pc
	.byte	6                               ; DW_FORM_data4
	.byte	0                               ; EOM(1)
	.byte	0                               ; EOM(2)
	.byte	2                               ; Abbreviation Code
	.byte	46                              ; DW_TAG_subprogram
	.byte	0                               ; DW_CHILDREN_no
	.byte	3                               ; DW_AT_name
	.byte	14                              ; DW_FORM_strp
	.byte	32                              ; DW_AT_inline
	.byte	11                              ; DW_FORM_data1
	.byte	0                               ; EOM(1)
	.byte	0                               ; EOM(2)
	.byte	3                               ; Abbreviation Code
	.byte	46                              ; DW_TAG_subprogram
	.byte	1                               ; DW_CHILDREN_yes
	.byte	17                              ; DW_AT_low_pc
	.byte	1                               ; DW_FORM_addr
	.byte	18                              ; DW_AT_high_pc
	.byte	6                               ; DW_FORM_data4
	.byte	49                              ; DW_AT_abstract_origin
	.byte	19                              ; DW_FORM_ref4
	.byte	0                               ; EOM(1)
	.byte	0                               ; EOM(2)
	.byte	4                               ; Abbreviation Code
	.byte	29                              ; DW_TAG_inlined_subroutine
	.byte	1                               ; DW_CHILDREN_yes
	.byte	49                              ; DW_AT_abstract_origin
	.byte	19                              ; DW_FORM_ref4
	.byte	85                              ; DW_AT_ranges
	.byte	23                              ; DW_FORM_sec_offset
	.byte	88                              ; DW_AT_call_file
	.byte	11                              ; DW_FORM_data1
	.byte	89                              ; DW_AT_call_line
	.byte	11                              ; DW_FORM_data1
	.byte	87                              ; DW_AT_call_column
	.byte	11                              ; DW_FORM_data1
	.byte	0                               ; EOM(1)
	.byte	0                               ; EOM(2)
	.byte	5                               ; Abbreviation Code
	.byte	29                              ; DW_TAG_inlined_subroutine
	.byte	0                               ; DW_CHILDREN_no
	.byte	49                              ; DW_AT_abstract_origin
	.byte	19                              ; DW_FORM_ref4
	.byte	85                              ; DW_AT_ranges
	.byte	23                              ; DW_FORM_sec_offset
	.byte	88                              ; DW_AT_call_file
	.byte	11                              ; DW_FORM_data1
	.byte	89                              ; DW_AT_call_line
	.byte	11                              ; DW_FORM_data1
	.byte	87                              ; DW_AT_call_column
	.byte	11                              ; DW_FORM_data1
	.byte	0                               ; EOM(1)
	.byte	0                               ; EOM(2)
	;; [unrolled: 1-line block ×3, first 2 shown]
	.section	.debug_info,"",@progbits
.Lcu_begin0:
	.long	.Ldebug_info_end0-.Ldebug_info_start0 ; Length of Unit
.Ldebug_info_start0:
	.short	4                               ; DWARF version number
	.long	.debug_abbrev                   ; Offset Into Abbrev. Section
	.byte	8                               ; Address Size (in bytes)
	.byte	1                               ; Abbrev [1] 0xb:0x51 DW_TAG_compile_unit
	.long	.Linfo_string0                  ; DW_AT_producer
	.short	2                               ; DW_AT_language
	.long	.Linfo_string1                  ; DW_AT_name
	.long	.Lline_table_start0             ; DW_AT_stmt_list
	.long	.Linfo_string2                  ; DW_AT_comp_dir
	.quad	.Lfunc_begin0                   ; DW_AT_low_pc
	.long	.Lfunc_end0-.Lfunc_begin0       ; DW_AT_high_pc
	.byte	2                               ; Abbrev [2] 0x2a:0x6 DW_TAG_subprogram
	.long	.Linfo_string3                  ; DW_AT_name
	.byte	1                               ; DW_AT_inline
	.byte	3                               ; Abbrev [3] 0x30:0x2b DW_TAG_subprogram
	.quad	.Lfunc_begin0                   ; DW_AT_low_pc
	.long	.Lfunc_end0-.Lfunc_begin0       ; DW_AT_high_pc
	.long	42                              ; DW_AT_abstract_origin
	.byte	4                               ; Abbrev [4] 0x41:0x19 DW_TAG_inlined_subroutine
	.long	42                              ; DW_AT_abstract_origin
	.long	.Ldebug_ranges0                 ; DW_AT_ranges
	.byte	1                               ; DW_AT_call_file
	.byte	66                              ; DW_AT_call_line
	.byte	32                              ; DW_AT_call_column
	.byte	5                               ; Abbrev [5] 0x4d:0xc DW_TAG_inlined_subroutine
	.long	42                              ; DW_AT_abstract_origin
	.long	.Ldebug_ranges1                 ; DW_AT_ranges
	.byte	2                               ; DW_AT_call_file
	.byte	191                             ; DW_AT_call_line
	.byte	40                              ; DW_AT_call_column
	.byte	0                               ; End Of Children Mark
	.byte	0                               ; End Of Children Mark
	;; [unrolled: 1-line block ×3, first 2 shown]
.Ldebug_info_end0:
	.section	.debug_ranges,"",@progbits
.Ldebug_ranges0:
	.quad	.Ltmp2-.Lfunc_begin0
	.quad	.Ltmp3-.Lfunc_begin0
	;; [unrolled: 1-line block ×10, first 2 shown]
	.quad	0
	.quad	0
.Ldebug_ranges1:
	.quad	.Ltmp5-.Lfunc_begin0
	.quad	.Ltmp6-.Lfunc_begin0
	;; [unrolled: 1-line block ×12, first 2 shown]
	.quad	0
	.quad	0
	.section	.debug_str,"MS",@progbits,1
.Linfo_string0:
	.asciz	"triton"                        ; string offset=0
.Linfo_string1:
	.asciz	"int8_utils_aot.py"             ; string offset=7
.Linfo_string2:
	.asciz	"/root/src/amdgpu-assembly/repos/vllm-project__vllm/triton_aot_kernels" ; string offset=25
.Linfo_string3:
	.asciz	"_per_token_group_quant_int8"   ; string offset=95
	.section	".note.GNU-stack","",@progbits
	.amdgpu_metadata
---
amdhsa.kernels:
  - .agpr_count:     0
    .args:
      - .address_space:  global
        .offset:         0
        .size:           8
        .value_kind:     global_buffer
      - .address_space:  global
        .offset:         8
        .size:           8
        .value_kind:     global_buffer
      - .address_space:  global
        .offset:         16
        .size:           8
        .value_kind:     global_buffer
      - .offset:         24
        .size:           4
        .value_kind:     by_value
      - .offset:         28
        .size:           4
        .value_kind:     by_value
      - .offset:         32
        .size:           4
        .value_kind:     by_value
      - .offset:         36
        .size:           4
        .value_kind:     by_value
      - .offset:         40
        .size:           4
        .value_kind:     by_value
      - .address_space:  global
        .offset:         48
        .size:           8
        .value_kind:     global_buffer
      - .address_space:  global
        .offset:         56
        .size:           8
        .value_kind:     global_buffer
    .group_segment_fixed_size: 0
    .kernarg_segment_align: 8
    .kernarg_segment_size: 64
    .max_flat_workgroup_size: 256
    .name:           _per_token_group_quant_int8
    .private_segment_fixed_size: 0
    .sgpr_count:     30
    .sgpr_spill_count: 0
    .symbol:         _per_token_group_quant_int8.kd
    .uniform_work_group_size: 1
    .uses_dynamic_stack: false
    .vgpr_count:     10
    .vgpr_spill_count: 0
    .wavefront_size: 64
amdhsa.target:   amdgcn-amd-amdhsa--gfx950
amdhsa.version:
  - 1
  - 2
...

	.end_amdgpu_metadata
	.section	.debug_line,"",@progbits
.Lline_table_start0:
